;; amdgpu-corpus repo=ROCm/rocFFT kind=compiled arch=gfx1201 opt=O3
	.text
	.amdgcn_target "amdgcn-amd-amdhsa--gfx1201"
	.amdhsa_code_object_version 6
	.protected	fft_rtc_back_len250_factors_10_5_5_wgs_125_tpt_25_halfLds_sp_op_CI_CI_unitstride_sbrr_R2C_dirReg ; -- Begin function fft_rtc_back_len250_factors_10_5_5_wgs_125_tpt_25_halfLds_sp_op_CI_CI_unitstride_sbrr_R2C_dirReg
	.globl	fft_rtc_back_len250_factors_10_5_5_wgs_125_tpt_25_halfLds_sp_op_CI_CI_unitstride_sbrr_R2C_dirReg
	.p2align	8
	.type	fft_rtc_back_len250_factors_10_5_5_wgs_125_tpt_25_halfLds_sp_op_CI_CI_unitstride_sbrr_R2C_dirReg,@function
fft_rtc_back_len250_factors_10_5_5_wgs_125_tpt_25_halfLds_sp_op_CI_CI_unitstride_sbrr_R2C_dirReg: ; @fft_rtc_back_len250_factors_10_5_5_wgs_125_tpt_25_halfLds_sp_op_CI_CI_unitstride_sbrr_R2C_dirReg
; %bb.0:
	s_load_b128 s[8:11], s[0:1], 0x0
	v_mul_u32_u24_e32 v1, 0xa3e, v0
	s_clause 0x1
	s_load_b128 s[4:7], s[0:1], 0x58
	s_load_b128 s[12:15], s[0:1], 0x18
	v_mov_b32_e32 v10, 0
	v_lshrrev_b32_e32 v1, 16, v1
	s_delay_alu instid0(VALU_DEP_1) | instskip(SKIP_1) | instid1(VALU_DEP_4)
	v_mad_co_u64_u32 v[3:4], null, ttmp9, 5, v[1:2]
	v_mov_b32_e32 v8, 0
	v_dual_mov_b32 v9, 0 :: v_dual_mov_b32 v4, v10
	s_delay_alu instid0(VALU_DEP_1) | instskip(SKIP_2) | instid1(VALU_DEP_3)
	v_dual_mov_b32 v1, v8 :: v_dual_mov_b32 v2, v9
	s_wait_kmcnt 0x0
	v_cmp_lt_u64_e64 s2, s[10:11], 2
	v_dual_mov_b32 v6, v4 :: v_dual_mov_b32 v5, v3
	s_delay_alu instid0(VALU_DEP_2)
	s_and_b32 vcc_lo, exec_lo, s2
	s_cbranch_vccnz .LBB0_8
; %bb.1:
	s_load_b64 s[2:3], s[0:1], 0x10
	v_dual_mov_b32 v8, 0 :: v_dual_mov_b32 v13, v4
	v_dual_mov_b32 v9, 0 :: v_dual_mov_b32 v12, v3
	s_delay_alu instid0(VALU_DEP_2) | instskip(SKIP_2) | instid1(VALU_DEP_2)
	v_mov_b32_e32 v1, v8
	s_add_nc_u64 s[16:17], s[14:15], 8
	s_add_nc_u64 s[18:19], s[12:13], 8
	v_mov_b32_e32 v2, v9
	s_mov_b64 s[20:21], 1
	s_wait_kmcnt 0x0
	s_add_nc_u64 s[22:23], s[2:3], 8
	s_mov_b32 s3, 0
.LBB0_2:                                ; =>This Inner Loop Header: Depth=1
	s_load_b64 s[24:25], s[22:23], 0x0
                                        ; implicit-def: $vgpr5_vgpr6
	s_mov_b32 s2, exec_lo
	s_wait_kmcnt 0x0
	v_or_b32_e32 v11, s25, v13
	s_delay_alu instid0(VALU_DEP_1)
	v_cmpx_ne_u64_e32 0, v[10:11]
	s_wait_alu 0xfffe
	s_xor_b32 s26, exec_lo, s2
	s_cbranch_execz .LBB0_4
; %bb.3:                                ;   in Loop: Header=BB0_2 Depth=1
	s_cvt_f32_u32 s2, s24
	s_cvt_f32_u32 s27, s25
	s_sub_nc_u64 s[30:31], 0, s[24:25]
	s_wait_alu 0xfffe
	s_delay_alu instid0(SALU_CYCLE_1) | instskip(SKIP_1) | instid1(SALU_CYCLE_2)
	s_fmamk_f32 s2, s27, 0x4f800000, s2
	s_wait_alu 0xfffe
	v_s_rcp_f32 s2, s2
	s_delay_alu instid0(TRANS32_DEP_1) | instskip(SKIP_1) | instid1(SALU_CYCLE_2)
	s_mul_f32 s2, s2, 0x5f7ffffc
	s_wait_alu 0xfffe
	s_mul_f32 s27, s2, 0x2f800000
	s_wait_alu 0xfffe
	s_delay_alu instid0(SALU_CYCLE_2) | instskip(SKIP_1) | instid1(SALU_CYCLE_2)
	s_trunc_f32 s27, s27
	s_wait_alu 0xfffe
	s_fmamk_f32 s2, s27, 0xcf800000, s2
	s_cvt_u32_f32 s29, s27
	s_wait_alu 0xfffe
	s_delay_alu instid0(SALU_CYCLE_1) | instskip(SKIP_1) | instid1(SALU_CYCLE_2)
	s_cvt_u32_f32 s28, s2
	s_wait_alu 0xfffe
	s_mul_u64 s[34:35], s[30:31], s[28:29]
	s_wait_alu 0xfffe
	s_mul_hi_u32 s37, s28, s35
	s_mul_i32 s36, s28, s35
	s_mul_hi_u32 s2, s28, s34
	s_mul_i32 s33, s29, s34
	s_wait_alu 0xfffe
	s_add_nc_u64 s[36:37], s[2:3], s[36:37]
	s_mul_hi_u32 s27, s29, s34
	s_mul_hi_u32 s38, s29, s35
	s_add_co_u32 s2, s36, s33
	s_wait_alu 0xfffe
	s_add_co_ci_u32 s2, s37, s27
	s_mul_i32 s34, s29, s35
	s_add_co_ci_u32 s35, s38, 0
	s_wait_alu 0xfffe
	s_add_nc_u64 s[34:35], s[2:3], s[34:35]
	s_wait_alu 0xfffe
	v_add_co_u32 v4, s2, s28, s34
	s_delay_alu instid0(VALU_DEP_1) | instskip(SKIP_1) | instid1(VALU_DEP_1)
	s_cmp_lg_u32 s2, 0
	s_add_co_ci_u32 s29, s29, s35
	v_readfirstlane_b32 s28, v4
	s_wait_alu 0xfffe
	s_delay_alu instid0(VALU_DEP_1)
	s_mul_u64 s[30:31], s[30:31], s[28:29]
	s_wait_alu 0xfffe
	s_mul_hi_u32 s35, s28, s31
	s_mul_i32 s34, s28, s31
	s_mul_hi_u32 s2, s28, s30
	s_mul_i32 s33, s29, s30
	s_wait_alu 0xfffe
	s_add_nc_u64 s[34:35], s[2:3], s[34:35]
	s_mul_hi_u32 s27, s29, s30
	s_mul_hi_u32 s28, s29, s31
	s_wait_alu 0xfffe
	s_add_co_u32 s2, s34, s33
	s_add_co_ci_u32 s2, s35, s27
	s_mul_i32 s30, s29, s31
	s_add_co_ci_u32 s31, s28, 0
	s_wait_alu 0xfffe
	s_add_nc_u64 s[30:31], s[2:3], s[30:31]
	s_wait_alu 0xfffe
	v_add_co_u32 v6, s2, v4, s30
	s_delay_alu instid0(VALU_DEP_1) | instskip(SKIP_1) | instid1(VALU_DEP_1)
	s_cmp_lg_u32 s2, 0
	s_add_co_ci_u32 s2, s29, s31
	v_mul_hi_u32 v11, v12, v6
	s_wait_alu 0xfffe
	v_mad_co_u64_u32 v[4:5], null, v12, s2, 0
	v_mad_co_u64_u32 v[6:7], null, v13, v6, 0
	;; [unrolled: 1-line block ×3, first 2 shown]
	s_delay_alu instid0(VALU_DEP_3) | instskip(SKIP_1) | instid1(VALU_DEP_4)
	v_add_co_u32 v4, vcc_lo, v11, v4
	s_wait_alu 0xfffd
	v_add_co_ci_u32_e32 v5, vcc_lo, 0, v5, vcc_lo
	s_delay_alu instid0(VALU_DEP_2) | instskip(SKIP_1) | instid1(VALU_DEP_2)
	v_add_co_u32 v4, vcc_lo, v4, v6
	s_wait_alu 0xfffd
	v_add_co_ci_u32_e32 v4, vcc_lo, v5, v7, vcc_lo
	s_wait_alu 0xfffd
	v_add_co_ci_u32_e32 v5, vcc_lo, 0, v15, vcc_lo
	s_delay_alu instid0(VALU_DEP_2) | instskip(SKIP_1) | instid1(VALU_DEP_2)
	v_add_co_u32 v7, vcc_lo, v4, v14
	s_wait_alu 0xfffd
	v_add_co_ci_u32_e32 v6, vcc_lo, 0, v5, vcc_lo
	s_delay_alu instid0(VALU_DEP_2) | instskip(SKIP_1) | instid1(VALU_DEP_3)
	v_mul_lo_u32 v11, s25, v7
	v_mad_co_u64_u32 v[4:5], null, s24, v7, 0
	v_mul_lo_u32 v14, s24, v6
	s_delay_alu instid0(VALU_DEP_2) | instskip(NEXT) | instid1(VALU_DEP_2)
	v_sub_co_u32 v4, vcc_lo, v12, v4
	v_add3_u32 v5, v5, v14, v11
	s_delay_alu instid0(VALU_DEP_1) | instskip(SKIP_1) | instid1(VALU_DEP_1)
	v_sub_nc_u32_e32 v11, v13, v5
	s_wait_alu 0xfffd
	v_subrev_co_ci_u32_e64 v11, s2, s25, v11, vcc_lo
	v_add_co_u32 v14, s2, v7, 2
	s_wait_alu 0xf1ff
	v_add_co_ci_u32_e64 v15, s2, 0, v6, s2
	v_sub_co_u32 v16, s2, v4, s24
	v_sub_co_ci_u32_e32 v5, vcc_lo, v13, v5, vcc_lo
	s_wait_alu 0xf1ff
	v_subrev_co_ci_u32_e64 v11, s2, 0, v11, s2
	s_delay_alu instid0(VALU_DEP_3) | instskip(NEXT) | instid1(VALU_DEP_3)
	v_cmp_le_u32_e32 vcc_lo, s24, v16
	v_cmp_eq_u32_e64 s2, s25, v5
	s_wait_alu 0xfffd
	v_cndmask_b32_e64 v16, 0, -1, vcc_lo
	v_cmp_le_u32_e32 vcc_lo, s25, v11
	s_wait_alu 0xfffd
	v_cndmask_b32_e64 v17, 0, -1, vcc_lo
	v_cmp_le_u32_e32 vcc_lo, s24, v4
	;; [unrolled: 3-line block ×3, first 2 shown]
	s_wait_alu 0xfffd
	v_cndmask_b32_e64 v18, 0, -1, vcc_lo
	v_cmp_eq_u32_e32 vcc_lo, s25, v11
	s_wait_alu 0xf1ff
	s_delay_alu instid0(VALU_DEP_2)
	v_cndmask_b32_e64 v4, v18, v4, s2
	s_wait_alu 0xfffd
	v_cndmask_b32_e32 v11, v17, v16, vcc_lo
	v_add_co_u32 v16, vcc_lo, v7, 1
	s_wait_alu 0xfffd
	v_add_co_ci_u32_e32 v17, vcc_lo, 0, v6, vcc_lo
	s_delay_alu instid0(VALU_DEP_3) | instskip(SKIP_1) | instid1(VALU_DEP_2)
	v_cmp_ne_u32_e32 vcc_lo, 0, v11
	s_wait_alu 0xfffd
	v_cndmask_b32_e32 v5, v17, v15, vcc_lo
	v_cndmask_b32_e32 v11, v16, v14, vcc_lo
	v_cmp_ne_u32_e32 vcc_lo, 0, v4
	s_wait_alu 0xfffd
	s_delay_alu instid0(VALU_DEP_2)
	v_dual_cndmask_b32 v6, v6, v5 :: v_dual_cndmask_b32 v5, v7, v11
.LBB0_4:                                ;   in Loop: Header=BB0_2 Depth=1
	s_wait_alu 0xfffe
	s_and_not1_saveexec_b32 s2, s26
	s_cbranch_execz .LBB0_6
; %bb.5:                                ;   in Loop: Header=BB0_2 Depth=1
	v_cvt_f32_u32_e32 v4, s24
	s_sub_co_i32 s26, 0, s24
	s_delay_alu instid0(VALU_DEP_1) | instskip(NEXT) | instid1(TRANS32_DEP_1)
	v_rcp_iflag_f32_e32 v4, v4
	v_mul_f32_e32 v4, 0x4f7ffffe, v4
	s_delay_alu instid0(VALU_DEP_1) | instskip(SKIP_1) | instid1(VALU_DEP_1)
	v_cvt_u32_f32_e32 v4, v4
	s_wait_alu 0xfffe
	v_mul_lo_u32 v5, s26, v4
	s_delay_alu instid0(VALU_DEP_1) | instskip(NEXT) | instid1(VALU_DEP_1)
	v_mul_hi_u32 v5, v4, v5
	v_add_nc_u32_e32 v4, v4, v5
	s_delay_alu instid0(VALU_DEP_1) | instskip(NEXT) | instid1(VALU_DEP_1)
	v_mul_hi_u32 v4, v12, v4
	v_mul_lo_u32 v5, v4, s24
	v_add_nc_u32_e32 v6, 1, v4
	s_delay_alu instid0(VALU_DEP_2) | instskip(NEXT) | instid1(VALU_DEP_1)
	v_sub_nc_u32_e32 v5, v12, v5
	v_subrev_nc_u32_e32 v7, s24, v5
	v_cmp_le_u32_e32 vcc_lo, s24, v5
	s_wait_alu 0xfffd
	s_delay_alu instid0(VALU_DEP_2) | instskip(NEXT) | instid1(VALU_DEP_1)
	v_dual_cndmask_b32 v5, v5, v7 :: v_dual_cndmask_b32 v4, v4, v6
	v_cmp_le_u32_e32 vcc_lo, s24, v5
	s_delay_alu instid0(VALU_DEP_2) | instskip(SKIP_1) | instid1(VALU_DEP_1)
	v_add_nc_u32_e32 v6, 1, v4
	s_wait_alu 0xfffd
	v_dual_cndmask_b32 v5, v4, v6 :: v_dual_mov_b32 v6, v10
.LBB0_6:                                ;   in Loop: Header=BB0_2 Depth=1
	s_wait_alu 0xfffe
	s_or_b32 exec_lo, exec_lo, s2
	s_delay_alu instid0(VALU_DEP_1) | instskip(NEXT) | instid1(VALU_DEP_2)
	v_mul_lo_u32 v4, v6, s24
	v_mul_lo_u32 v7, v5, s25
	s_load_b64 s[26:27], s[18:19], 0x0
	v_mad_co_u64_u32 v[14:15], null, v5, s24, 0
	s_load_b64 s[24:25], s[16:17], 0x0
	s_add_nc_u64 s[20:21], s[20:21], 1
	s_add_nc_u64 s[16:17], s[16:17], 8
	s_wait_alu 0xfffe
	v_cmp_ge_u64_e64 s2, s[20:21], s[10:11]
	s_add_nc_u64 s[18:19], s[18:19], 8
	s_add_nc_u64 s[22:23], s[22:23], 8
	v_add3_u32 v4, v15, v7, v4
	v_sub_co_u32 v7, vcc_lo, v12, v14
	s_wait_alu 0xfffd
	s_delay_alu instid0(VALU_DEP_2) | instskip(SKIP_2) | instid1(VALU_DEP_1)
	v_sub_co_ci_u32_e32 v4, vcc_lo, v13, v4, vcc_lo
	s_and_b32 vcc_lo, exec_lo, s2
	s_wait_kmcnt 0x0
	v_mul_lo_u32 v11, s26, v4
	v_mul_lo_u32 v12, s27, v7
	v_mad_co_u64_u32 v[8:9], null, s26, v7, v[8:9]
	v_mul_lo_u32 v4, s24, v4
	v_mul_lo_u32 v13, s25, v7
	v_mad_co_u64_u32 v[1:2], null, s24, v7, v[1:2]
	s_delay_alu instid0(VALU_DEP_4) | instskip(NEXT) | instid1(VALU_DEP_2)
	v_add3_u32 v9, v12, v9, v11
	v_add3_u32 v2, v13, v2, v4
	s_wait_alu 0xfffe
	s_cbranch_vccnz .LBB0_8
; %bb.7:                                ;   in Loop: Header=BB0_2 Depth=1
	v_dual_mov_b32 v13, v6 :: v_dual_mov_b32 v12, v5
	s_branch .LBB0_2
.LBB0_8:
	s_load_b64 s[0:1], s[0:1], 0x28
	v_mul_hi_u32 v4, 0xcccccccd, v3
	s_lshl_b64 s[10:11], s[10:11], 3
	s_delay_alu instid0(VALU_DEP_1) | instskip(NEXT) | instid1(VALU_DEP_1)
	v_lshrrev_b32_e32 v4, 2, v4
	v_lshl_add_u32 v7, v4, 2, v4
	v_mul_hi_u32 v4, 0xa3d70a4, v0
	s_delay_alu instid0(VALU_DEP_2) | instskip(SKIP_3) | instid1(VALU_DEP_1)
	v_sub_nc_u32_e32 v10, v3, v7
	s_wait_kmcnt 0x0
	v_cmp_gt_u64_e32 vcc_lo, s[0:1], v[5:6]
	v_cmp_le_u64_e64 s0, s[0:1], v[5:6]
                                        ; implicit-def: $vgpr3
                                        ; implicit-def: $vgpr7
	s_and_saveexec_b32 s1, s0
	s_wait_alu 0xfffe
	s_xor_b32 s0, exec_lo, s1
; %bb.9:
	v_mul_u32_u24_e32 v3, 25, v4
                                        ; implicit-def: $vgpr4
                                        ; implicit-def: $vgpr8_vgpr9
	s_delay_alu instid0(VALU_DEP_1) | instskip(NEXT) | instid1(VALU_DEP_1)
	v_sub_nc_u32_e32 v3, v0, v3
                                        ; implicit-def: $vgpr0
	v_add_nc_u32_e32 v7, 25, v3
; %bb.10:
	s_wait_alu 0xfffe
	s_or_saveexec_b32 s1, s0
	v_mul_u32_u24_e32 v10, 0xfb, v10
	s_add_nc_u64 s[2:3], s[14:15], s[10:11]
	s_delay_alu instid0(VALU_DEP_1)
	v_lshlrev_b32_e32 v11, 3, v10
	s_wait_alu 0xfffe
	s_xor_b32 exec_lo, exec_lo, s1
	s_cbranch_execz .LBB0_12
; %bb.11:
	s_add_nc_u64 s[10:11], s[12:13], s[10:11]
	s_load_b64 s[10:11], s[10:11], 0x0
	s_wait_kmcnt 0x0
	v_mul_lo_u32 v3, s11, v5
	v_mul_lo_u32 v7, s10, v6
	v_mad_co_u64_u32 v[12:13], null, s10, v5, 0
	s_delay_alu instid0(VALU_DEP_1) | instskip(SKIP_2) | instid1(VALU_DEP_3)
	v_add3_u32 v13, v13, v7, v3
	v_mul_u32_u24_e32 v3, 25, v4
	v_lshlrev_b64_e32 v[7:8], 3, v[8:9]
	v_lshlrev_b64_e32 v[12:13], 3, v[12:13]
	s_delay_alu instid0(VALU_DEP_3) | instskip(NEXT) | instid1(VALU_DEP_1)
	v_sub_nc_u32_e32 v3, v0, v3
	v_lshlrev_b32_e32 v30, 3, v3
	s_delay_alu instid0(VALU_DEP_3) | instskip(SKIP_1) | instid1(VALU_DEP_4)
	v_add_co_u32 v0, s0, s4, v12
	s_wait_alu 0xf1ff
	v_add_co_ci_u32_e64 v4, s0, s5, v13, s0
	s_delay_alu instid0(VALU_DEP_2) | instskip(SKIP_1) | instid1(VALU_DEP_2)
	v_add_co_u32 v0, s0, v0, v7
	s_wait_alu 0xf1ff
	v_add_co_ci_u32_e64 v4, s0, v4, v8, s0
	s_delay_alu instid0(VALU_DEP_2) | instskip(SKIP_1) | instid1(VALU_DEP_2)
	v_add_co_u32 v7, s0, v0, v30
	s_wait_alu 0xf1ff
	v_add_co_ci_u32_e64 v8, s0, 0, v4, s0
	s_clause 0x9
	global_load_b64 v[9:10], v[7:8], off
	global_load_b64 v[12:13], v[7:8], off offset:200
	global_load_b64 v[14:15], v[7:8], off offset:400
	;; [unrolled: 1-line block ×9, first 2 shown]
	v_add3_u32 v0, 0, v11, v30
	v_add_nc_u32_e32 v7, 25, v3
	s_wait_loadcnt 0x8
	ds_store_2addr_b64 v0, v[9:10], v[12:13] offset1:25
	s_wait_loadcnt 0x6
	ds_store_2addr_b64 v0, v[14:15], v[16:17] offset0:50 offset1:75
	s_wait_loadcnt 0x4
	ds_store_2addr_b64 v0, v[18:19], v[20:21] offset0:100 offset1:125
	;; [unrolled: 2-line block ×4, first 2 shown]
.LBB0_12:
	s_or_b32 exec_lo, exec_lo, s1
	v_lshlrev_b32_e32 v4, 3, v3
	v_add_nc_u32_e32 v0, 0, v11
	s_load_b64 s[2:3], s[2:3], 0x0
	global_wb scope:SCOPE_SE
	s_wait_dscnt 0x0
	s_wait_kmcnt 0x0
	s_barrier_signal -1
	v_add3_u32 v10, 0, v4, v11
	v_add_nc_u32_e32 v16, v0, v4
	s_barrier_wait -1
	global_inv scope:SCOPE_SE
	s_mov_b32 s1, exec_lo
	ds_load_2addr_b64 v[12:15], v10 offset0:25 offset1:50
	ds_load_2addr_b64 v[17:20], v10 offset0:75 offset1:100
	ds_load_b64 v[8:9], v16
	ds_load_2addr_b64 v[21:24], v10 offset0:125 offset1:150
	ds_load_2addr_b64 v[25:28], v10 offset0:175 offset1:200
	ds_load_b64 v[29:30], v10 offset:1800
	global_wb scope:SCOPE_SE
	s_wait_dscnt 0x0
	s_barrier_signal -1
	s_barrier_wait -1
	global_inv scope:SCOPE_SE
	v_sub_f32_e32 v35, v14, v19
	v_dual_add_f32 v31, v8, v14 :: v_dual_add_f32 v32, v19, v23
	v_add_f32_e32 v41, v20, v24
	v_sub_f32_e32 v33, v15, v28
	v_dual_sub_f32 v34, v20, v24 :: v_dual_add_f32 v37, v14, v27
	v_sub_f32_e32 v38, v19, v14
	v_dual_sub_f32 v39, v23, v27 :: v_dual_sub_f32 v44, v28, v24
	v_dual_add_f32 v40, v9, v15 :: v_dual_sub_f32 v43, v15, v20
	v_sub_f32_e32 v42, v19, v23
	v_add_f32_e32 v19, v31, v19
	v_fma_f32 v31, -0.5, v32, v8
	v_sub_f32_e32 v36, v27, v23
	v_fma_f32 v8, -0.5, v37, v8
	v_fma_f32 v37, -0.5, v41, v9
	s_delay_alu instid0(VALU_DEP_3) | instskip(SKIP_4) | instid1(VALU_DEP_4)
	v_dual_add_f32 v32, v35, v36 :: v_dual_add_f32 v35, v38, v39
	v_dual_add_f32 v36, v40, v20 :: v_dual_add_f32 v19, v19, v23
	v_fmamk_f32 v38, v33, 0xbf737871, v31
	v_dual_fmac_f32 v31, 0x3f737871, v33 :: v_dual_sub_f32 v14, v14, v27
	v_fmamk_f32 v39, v34, 0x3f737871, v8
	v_dual_fmac_f32 v8, 0xbf737871, v34 :: v_dual_add_f32 v23, v19, v27
	s_delay_alu instid0(VALU_DEP_4) | instskip(NEXT) | instid1(VALU_DEP_4)
	v_dual_fmac_f32 v38, 0xbf167918, v34 :: v_dual_add_f32 v27, v36, v24
	v_fmac_f32_e32 v31, 0x3f167918, v34
	v_dual_fmamk_f32 v40, v14, 0x3f737871, v37 :: v_dual_add_f32 v19, v15, v28
	v_fmac_f32_e32 v39, 0xbf167918, v33
	v_fmac_f32_e32 v8, 0x3f167918, v33
	;; [unrolled: 1-line block ×4, first 2 shown]
	v_dual_fmac_f32 v40, 0x3f167918, v42 :: v_dual_add_f32 v33, v27, v28
	v_fmac_f32_e32 v9, -0.5, v19
	v_dual_fmac_f32 v31, 0x3e9e377a, v32 :: v_dual_fmac_f32 v8, 0x3e9e377a, v35
	s_delay_alu instid0(VALU_DEP_4) | instskip(SKIP_2) | instid1(VALU_DEP_3)
	v_dual_add_f32 v32, v43, v44 :: v_dual_fmac_f32 v37, 0xbf167918, v42
	v_add_f32_e32 v19, v12, v17
	v_add_f32_e32 v27, v21, v25
	v_dual_sub_f32 v15, v20, v15 :: v_dual_fmac_f32 v40, 0x3e9e377a, v32
	s_delay_alu instid0(VALU_DEP_3)
	v_dual_sub_f32 v20, v24, v28 :: v_dual_add_f32 v19, v19, v21
	v_dual_sub_f32 v28, v22, v26 :: v_dual_fmac_f32 v37, 0x3e9e377a, v32
	v_fmamk_f32 v32, v42, 0xbf737871, v9
	v_fmac_f32_e32 v9, 0x3f737871, v42
	v_fma_f32 v24, -0.5, v27, v12
	v_fmac_f32_e32 v39, 0x3e9e377a, v35
	s_delay_alu instid0(VALU_DEP_4) | instskip(NEXT) | instid1(VALU_DEP_1)
	v_dual_fmac_f32 v32, 0x3f167918, v14 :: v_dual_add_f32 v15, v15, v20
	v_dual_sub_f32 v27, v18, v30 :: v_dual_fmac_f32 v32, 0x3e9e377a, v15
	s_delay_alu instid0(VALU_DEP_1) | instskip(SKIP_1) | instid1(VALU_DEP_2)
	v_fmamk_f32 v20, v27, 0xbf737871, v24
	v_dual_fmac_f32 v9, 0xbf167918, v14 :: v_dual_add_f32 v14, v19, v25
	v_dual_add_f32 v19, v17, v29 :: v_dual_fmac_f32 v20, 0xbf167918, v28
	s_delay_alu instid0(VALU_DEP_2) | instskip(SKIP_1) | instid1(VALU_DEP_3)
	v_dual_fmac_f32 v9, 0x3e9e377a, v15 :: v_dual_add_f32 v34, v14, v29
	v_sub_f32_e32 v14, v29, v25
	v_fma_f32 v15, -0.5, v19, v12
	v_sub_f32_e32 v12, v17, v21
	v_dual_fmac_f32 v24, 0x3f737871, v27 :: v_dual_sub_f32 v19, v21, v17
	v_sub_f32_e32 v17, v17, v29
	s_delay_alu instid0(VALU_DEP_4) | instskip(NEXT) | instid1(VALU_DEP_4)
	v_fmamk_f32 v35, v28, 0x3f737871, v15
	v_add_f32_e32 v12, v12, v14
	v_sub_f32_e32 v36, v25, v29
	v_fmac_f32_e32 v24, 0x3f167918, v28
	v_fmac_f32_e32 v15, 0xbf737871, v28
	s_delay_alu instid0(VALU_DEP_3) | instskip(SKIP_1) | instid1(VALU_DEP_4)
	v_dual_fmac_f32 v35, 0xbf167918, v27 :: v_dual_add_f32 v14, v19, v36
	v_dual_fmac_f32 v20, 0x3e9e377a, v12 :: v_dual_add_f32 v19, v22, v26
	v_fmac_f32_e32 v24, 0x3e9e377a, v12
	s_delay_alu instid0(VALU_DEP_4) | instskip(NEXT) | instid1(VALU_DEP_4)
	v_dual_add_f32 v12, v18, v30 :: v_dual_fmac_f32 v15, 0x3f167918, v27
	v_fmac_f32_e32 v35, 0x3e9e377a, v14
	s_delay_alu instid0(VALU_DEP_4) | instskip(SKIP_1) | instid1(VALU_DEP_4)
	v_fma_f32 v27, -0.5, v19, v13
	v_sub_f32_e32 v29, v26, v30
	v_dual_fmac_f32 v15, 0x3e9e377a, v14 :: v_dual_sub_f32 v14, v21, v25
	v_fma_f32 v21, -0.5, v12, v13
	v_sub_f32_e32 v25, v30, v26
	s_delay_alu instid0(VALU_DEP_2) | instskip(NEXT) | instid1(VALU_DEP_1)
	v_fmamk_f32 v28, v14, 0xbf737871, v21
	v_dual_sub_f32 v19, v18, v22 :: v_dual_fmac_f32 v28, 0x3f167918, v17
	s_delay_alu instid0(VALU_DEP_1) | instskip(SKIP_2) | instid1(VALU_DEP_3)
	v_dual_add_f32 v12, v13, v18 :: v_dual_add_f32 v19, v19, v25
	v_dual_fmamk_f32 v13, v17, 0x3f737871, v27 :: v_dual_sub_f32 v18, v22, v18
	v_fmac_f32_e32 v21, 0x3f737871, v14
	v_dual_add_f32 v12, v12, v22 :: v_dual_fmac_f32 v27, 0xbf737871, v17
	s_delay_alu instid0(VALU_DEP_3) | instskip(NEXT) | instid1(VALU_DEP_2)
	v_dual_fmac_f32 v13, 0x3f167918, v14 :: v_dual_add_f32 v18, v18, v29
	v_dual_fmac_f32 v21, 0xbf167918, v17 :: v_dual_add_f32 v12, v12, v26
	s_delay_alu instid0(VALU_DEP_2) | instskip(NEXT) | instid1(VALU_DEP_2)
	v_dual_fmac_f32 v13, 0x3e9e377a, v19 :: v_dual_fmac_f32 v28, 0x3e9e377a, v18
	v_fmac_f32_e32 v21, 0x3e9e377a, v18
	s_delay_alu instid0(VALU_DEP_3) | instskip(NEXT) | instid1(VALU_DEP_3)
	v_add_f32_e32 v30, v12, v30
	v_dual_add_f32 v12, v23, v34 :: v_dual_mul_f32 v25, 0xbf167918, v13
	s_delay_alu instid0(VALU_DEP_4) | instskip(SKIP_3) | instid1(VALU_DEP_4)
	v_mul_f32_e32 v26, 0xbf737871, v28
	v_mul_f32_e32 v28, 0x3e9e377a, v28
	;; [unrolled: 1-line block ×3, first 2 shown]
	v_dual_mul_f32 v42, 0xbe9e377a, v21 :: v_dual_sub_f32 v23, v23, v34
	v_fmac_f32_e32 v26, 0x3e9e377a, v35
	s_delay_alu instid0(VALU_DEP_4) | instskip(SKIP_2) | instid1(VALU_DEP_4)
	v_fmac_f32_e32 v28, 0x3f737871, v35
	v_fmac_f32_e32 v27, 0xbf167918, v14
	;; [unrolled: 1-line block ×3, first 2 shown]
	v_dual_fmac_f32 v42, 0x3f737871, v15 :: v_dual_add_f32 v17, v39, v26
	s_delay_alu instid0(VALU_DEP_3) | instskip(SKIP_2) | instid1(VALU_DEP_3)
	v_dual_add_f32 v18, v32, v28 :: v_dual_fmac_f32 v27, 0x3e9e377a, v19
	v_fmac_f32_e32 v25, 0x3f4f1bbd, v20
	v_mad_u32_u24 v34, 0x48, v3, v10
	v_mul_f32_e32 v36, 0xbf167918, v27
	v_mul_f32_e32 v43, 0xbf4f1bbd, v27
	v_add_f32_e32 v19, v8, v29
	v_sub_f32_e32 v8, v8, v29
	s_delay_alu instid0(VALU_DEP_4) | instskip(NEXT) | instid1(VALU_DEP_4)
	v_fmac_f32_e32 v36, 0xbf4f1bbd, v24
	v_fmac_f32_e32 v43, 0x3f167918, v24
	v_mul_f32_e32 v41, 0x3f167918, v20
	v_and_b32_e32 v24, 0xff, v3
	s_delay_alu instid0(VALU_DEP_4) | instskip(NEXT) | instid1(VALU_DEP_3)
	v_dual_add_f32 v20, v9, v42 :: v_dual_add_f32 v21, v31, v36
	v_dual_add_f32 v22, v37, v43 :: v_dual_fmac_f32 v41, 0x3f4f1bbd, v13
	v_dual_add_f32 v14, v38, v25 :: v_dual_add_f32 v13, v33, v30
	v_dual_sub_f32 v25, v38, v25 :: v_dual_sub_f32 v28, v32, v28
	v_sub_f32_e32 v29, v31, v36
	v_mul_lo_u16 v31, 0xcd, v24
	v_dual_sub_f32 v24, v33, v30 :: v_dual_add_f32 v15, v40, v41
	v_and_b32_e32 v32, 0xff, v7
	ds_store_2addr_b64 v34, v[12:13], v[14:15] offset1:1
	ds_store_2addr_b64 v34, v[17:18], v[19:20] offset0:2 offset1:3
	v_lshrrev_b16 v31, 11, v31
	v_mul_lo_u16 v32, 0xcd, v32
	v_dual_sub_f32 v27, v39, v26 :: v_dual_sub_f32 v26, v40, v41
	v_sub_f32_e32 v30, v37, v43
	s_delay_alu instid0(VALU_DEP_4) | instskip(NEXT) | instid1(VALU_DEP_4)
	v_mul_lo_u16 v33, v31, 10
	v_lshrrev_b16 v32, 11, v32
	v_sub_f32_e32 v9, v9, v42
	v_lshl_add_u32 v17, v7, 3, v0
	s_delay_alu instid0(VALU_DEP_4) | instskip(NEXT) | instid1(VALU_DEP_4)
	v_sub_nc_u16 v33, v3, v33
	v_mul_lo_u16 v12, v32, 10
	s_delay_alu instid0(VALU_DEP_2)
	v_and_b32_e32 v38, 0xff, v33
	ds_store_2addr_b64 v34, v[21:22], v[23:24] offset0:4 offset1:5
	ds_store_2addr_b64 v34, v[25:26], v[27:28] offset0:6 offset1:7
	;; [unrolled: 1-line block ×3, first 2 shown]
	v_sub_nc_u16 v8, v7, v12
	global_wb scope:SCOPE_SE
	s_wait_dscnt 0x0
	s_barrier_signal -1
	v_lshlrev_b32_e32 v9, 5, v38
	s_barrier_wait -1
	v_and_b32_e32 v50, 0xff, v8
	global_inv scope:SCOPE_SE
	global_load_b128 v[12:15], v9, s[8:9]
	v_lshlrev_b32_e32 v8, 5, v50
	s_clause 0x2
	global_load_b128 v[18:21], v9, s[8:9] offset:16
	global_load_b128 v[22:25], v8, s[8:9]
	global_load_b128 v[26:29], v8, s[8:9] offset:16
	v_mov_b32_e32 v9, 0
	ds_load_b64 v[46:47], v16
	ds_load_b64 v[48:49], v10 offset:400
	ds_load_2addr_b64 v[34:37], v10 offset0:150 offset1:175
	v_lshlrev_b32_e32 v8, 2, v3
	v_and_b32_e32 v30, 0xffff, v31
	v_lshlrev_b32_e32 v53, 3, v38
	ds_load_2addr_b64 v[38:41], v10 offset0:200 offset1:225
	v_lshlrev_b32_e32 v54, 3, v50
	v_lshlrev_b64_e32 v[42:43], 3, v[8:9]
	v_lshlrev_b32_e32 v8, 2, v7
	ds_load_2addr_b32 v[50:51], v10 offset0:150 offset1:151
	v_lshlrev_b64_e32 v[44:45], 3, v[8:9]
	v_and_b32_e32 v8, 0xffff, v32
	v_add_co_u32 v42, s0, s8, v42
	s_wait_alu 0xf1ff
	v_add_co_ci_u32_e64 v43, s0, s9, v43, s0
	s_delay_alu instid0(VALU_DEP_3)
	v_mad_u32_u24 v8, 0x190, v8, 0
	s_wait_loadcnt_dscnt 0x202
	v_mul_f32_e32 v56, v19, v35
	v_mul_f32_e32 v19, v19, v34
	v_mad_u32_u24 v52, 0x190, v30, 0
	ds_load_2addr_b64 v[30:33], v10 offset0:100 offset1:125
	s_wait_dscnt 0x2
	v_mul_f32_e32 v57, v21, v39
	v_add3_u32 v8, v8, v54, v11
	s_wait_loadcnt_dscnt 0x101
	v_dual_mul_f32 v21, v21, v38 :: v_dual_mul_f32 v58, v51, v23
	v_add3_u32 v55, v52, v53, v11
	ds_load_b64 v[52:53], v17
	v_mul_f32_e32 v11, v13, v49
	v_mul_f32_e32 v13, v13, v48
	s_wait_loadcnt 0x0
	v_dual_mul_f32 v23, v23, v50 :: v_dual_mul_f32 v60, v37, v27
	v_dual_mul_f32 v27, v36, v27 :: v_dual_fmac_f32 v58, v22, v50
	v_mul_f32_e32 v61, v41, v29
	v_fmac_f32_e32 v11, v12, v48
	v_fma_f32 v12, v12, v49, -v13
	v_fmac_f32_e32 v56, v18, v34
	v_fmac_f32_e32 v60, v36, v26
	global_wb scope:SCOPE_SE
	s_wait_dscnt 0x0
	s_barrier_signal -1
	v_mul_f32_e32 v54, v15, v31
	v_mul_f32_e32 v15, v15, v30
	;; [unrolled: 1-line block ×4, first 2 shown]
	s_barrier_wait -1
	v_dual_fmac_f32 v54, v14, v30 :: v_dual_mul_f32 v29, v40, v29
	v_fma_f32 v13, v14, v31, -v15
	v_fma_f32 v15, v18, v35, -v19
	v_fmac_f32_e32 v57, v20, v38
	v_fma_f32 v30, v20, v39, -v21
	v_fma_f32 v14, v51, v22, -v23
	;; [unrolled: 1-line block ×4, first 2 shown]
	s_delay_alu instid0(VALU_DEP_4)
	v_dual_fmac_f32 v61, v40, v28 :: v_dual_sub_f32 v36, v30, v15
	v_add_f32_e32 v20, v54, v56
	v_fma_f32 v29, v41, v28, -v29
	v_dual_sub_f32 v28, v13, v15 :: v_dual_fmac_f32 v59, v32, v24
	v_add_f32_e32 v32, v13, v15
	v_dual_add_f32 v24, v11, v57 :: v_dual_add_f32 v19, v46, v11
	v_dual_sub_f32 v22, v57, v56 :: v_dual_sub_f32 v21, v11, v54
	v_dual_sub_f32 v26, v56, v57 :: v_dual_sub_f32 v25, v54, v11
	v_sub_f32_e32 v38, v13, v12
	v_dual_add_f32 v31, v47, v12 :: v_dual_add_f32 v40, v52, v58
	v_dual_sub_f32 v33, v11, v57 :: v_dual_sub_f32 v50, v58, v59
	v_dual_sub_f32 v35, v12, v13 :: v_dual_add_f32 v66, v18, v23
	v_dual_add_f32 v37, v12, v30 :: v_dual_sub_f32 v48, v14, v29
	v_dual_sub_f32 v39, v15, v30 :: v_dual_add_f32 v62, v58, v61
	v_add_f32_e32 v65, v53, v14
	v_fma_f32 v11, -0.5, v20, v46
	v_fma_f32 v46, -0.5, v24, v46
	v_dual_add_f32 v41, v59, v60 :: v_dual_sub_f32 v64, v60, v61
	v_dual_sub_f32 v63, v59, v58 :: v_dual_add_f32 v70, v14, v29
	v_dual_sub_f32 v27, v12, v30 :: v_dual_sub_f32 v34, v54, v56
	v_dual_sub_f32 v49, v18, v23 :: v_dual_sub_f32 v72, v23, v29
	;; [unrolled: 1-line block ×4, first 2 shown]
	v_sub_f32_e32 v71, v18, v14
	v_dual_add_f32 v19, v19, v54 :: v_dual_fmamk_f32 v20, v28, 0x3f737871, v46
	v_dual_add_f32 v54, v21, v22 :: v_dual_add_f32 v21, v31, v13
	v_fma_f32 v12, -0.5, v32, v47
	v_dual_fmac_f32 v47, -0.5, v37 :: v_dual_add_f32 v32, v38, v39
	v_dual_add_f32 v22, v40, v59 :: v_dual_add_f32 v73, v25, v26
	v_dual_add_f32 v38, v71, v72 :: v_dual_add_f32 v25, v65, v18
	v_fmac_f32_e32 v46, 0xbf737871, v28
	v_fma_f32 v14, -0.5, v66, v53
	v_fma_f32 v13, -0.5, v41, v52
	v_sub_f32_e32 v69, v29, v23
	v_fma_f32 v52, -0.5, v62, v52
	v_fmac_f32_e32 v53, -0.5, v70
	v_add_f32_e32 v31, v35, v36
	v_dual_add_f32 v35, v50, v51 :: v_dual_fmamk_f32 v18, v27, 0xbf737871, v11
	v_dual_add_f32 v26, v19, v56 :: v_dual_fmac_f32 v11, 0x3f737871, v27
	v_add_f32_e32 v15, v21, v15
	v_dual_fmamk_f32 v21, v34, 0xbf737871, v47 :: v_dual_add_f32 v40, v25, v23
	v_add_f32_e32 v39, v22, v60
	v_fmamk_f32 v23, v58, 0x3f737871, v14
	v_fmac_f32_e32 v14, 0xbf737871, v58
	v_fmamk_f32 v19, v33, 0x3f737871, v12
	v_fmac_f32_e32 v12, 0xbf737871, v33
	v_fmac_f32_e32 v47, 0x3f737871, v34
	v_fmamk_f32 v22, v48, 0xbf737871, v13
	v_dual_add_f32 v36, v63, v64 :: v_dual_add_f32 v37, v68, v69
	v_dual_fmamk_f32 v24, v49, 0x3f737871, v52 :: v_dual_fmac_f32 v13, 0x3f737871, v48
	v_dual_fmac_f32 v52, 0xbf737871, v49 :: v_dual_fmamk_f32 v25, v67, 0xbf737871, v53
	v_dual_fmac_f32 v53, 0x3f737871, v67 :: v_dual_add_f32 v26, v26, v57
	v_fmac_f32_e32 v18, 0xbf167918, v28
	v_dual_fmac_f32 v11, 0x3f167918, v28 :: v_dual_fmac_f32 v46, 0x3f167918, v27
	v_dual_add_f32 v28, v39, v61 :: v_dual_fmac_f32 v19, 0x3f167918, v34
	v_fmac_f32_e32 v52, 0x3f167918, v48
	v_dual_fmac_f32 v20, 0xbf167918, v27 :: v_dual_fmac_f32 v47, 0xbf167918, v33
	v_dual_fmac_f32 v12, 0xbf167918, v34 :: v_dual_add_f32 v29, v40, v29
	v_fmac_f32_e32 v21, 0x3f167918, v33
	v_dual_fmac_f32 v22, 0xbf167918, v49 :: v_dual_fmac_f32 v53, 0xbf167918, v58
	v_fmac_f32_e32 v23, 0x3f167918, v67
	v_fmac_f32_e32 v13, 0x3f167918, v49
	;; [unrolled: 1-line block ×5, first 2 shown]
	v_add_f32_e32 v27, v15, v30
	v_dual_fmac_f32 v18, 0x3e9e377a, v54 :: v_dual_fmac_f32 v19, 0x3e9e377a, v31
	v_dual_fmac_f32 v11, 0x3e9e377a, v54 :: v_dual_fmac_f32 v20, 0x3e9e377a, v73
	;; [unrolled: 1-line block ×8, first 2 shown]
	global_inv scope:SCOPE_SE
	ds_store_2addr_b64 v55, v[26:27], v[18:19] offset1:10
	ds_store_2addr_b64 v55, v[20:21], v[46:47] offset0:20 offset1:30
	ds_store_b64 v55, v[11:12] offset:320
	ds_store_2addr_b64 v8, v[28:29], v[22:23] offset1:10
	ds_store_2addr_b64 v8, v[24:25], v[52:53] offset0:20 offset1:30
	ds_store_b64 v8, v[13:14] offset:320
	v_add_co_u32 v26, s0, s8, v44
	s_wait_alu 0xf1ff
	v_add_co_ci_u32_e64 v27, s0, s9, v45, s0
	global_wb scope:SCOPE_SE
	s_wait_dscnt 0x0
	s_barrier_signal -1
	s_barrier_wait -1
	global_inv scope:SCOPE_SE
	s_clause 0x3
	global_load_b128 v[11:14], v[42:43], off offset:320
	global_load_b128 v[18:21], v[42:43], off offset:336
	;; [unrolled: 1-line block ×4, first 2 shown]
	ds_load_2addr_b64 v[30:33], v10 offset0:50 offset1:75
	ds_load_2addr_b64 v[34:37], v10 offset0:100 offset1:125
	;; [unrolled: 1-line block ×4, first 2 shown]
	ds_load_b64 v[46:47], v16
	ds_load_b64 v[48:49], v17
	global_wb scope:SCOPE_SE
	s_wait_loadcnt_dscnt 0x0
	s_barrier_signal -1
	s_barrier_wait -1
	global_inv scope:SCOPE_SE
	v_mul_f32_e32 v50, v19, v39
	v_mul_f32_e32 v8, v12, v31
	v_dual_mul_f32 v12, v12, v30 :: v_dual_mul_f32 v15, v14, v35
	v_mul_f32_e32 v14, v14, v34
	v_mul_f32_e32 v19, v19, v38
	;; [unrolled: 1-line block ×4, first 2 shown]
	v_dual_mul_f32 v51, v21, v43 :: v_dual_fmac_f32 v8, v11, v30
	v_fma_f32 v11, v11, v31, -v12
	v_fma_f32 v12, v13, v35, -v14
	s_delay_alu instid0(VALU_DEP_4)
	v_fmac_f32_e32 v54, v40, v26
	v_fma_f32 v19, v18, v39, -v19
	v_mul_f32_e32 v21, v21, v42
	v_mul_f32_e32 v23, v23, v32
	;; [unrolled: 1-line block ×3, first 2 shown]
	v_fmac_f32_e32 v15, v13, v34
	v_fmac_f32_e32 v50, v18, v38
	;; [unrolled: 1-line block ×3, first 2 shown]
	v_mul_f32_e32 v55, v45, v29
	v_dual_mul_f32 v29, v44, v29 :: v_dual_fmac_f32 v52, v22, v32
	v_dual_add_f32 v32, v12, v19 :: v_dual_mul_f32 v53, v37, v25
	v_mul_f32_e32 v25, v36, v25
	s_delay_alu instid0(VALU_DEP_3)
	v_fma_f32 v29, v45, v28, -v29
	v_add_f32_e32 v18, v46, v8
	v_fma_f32 v30, v20, v43, -v21
	v_fmac_f32_e32 v55, v44, v28
	v_sub_f32_e32 v28, v12, v19
	v_fma_f32 v13, v22, v33, -v23
	v_sub_f32_e32 v22, v51, v50
	v_sub_f32_e32 v38, v19, v30
	v_fma_f32 v14, v37, v24, -v25
	v_sub_f32_e32 v34, v11, v12
	v_fma_f32 v23, v41, v26, -v27
	v_dual_add_f32 v20, v15, v50 :: v_dual_fmac_f32 v53, v36, v24
	v_dual_add_f32 v36, v11, v30 :: v_dual_sub_f32 v21, v8, v15
	s_delay_alu instid0(VALU_DEP_3) | instskip(SKIP_1) | instid1(VALU_DEP_4)
	v_sub_f32_e32 v42, v14, v23
	v_add_f32_e32 v24, v8, v51
	v_dual_add_f32 v40, v53, v54 :: v_dual_add_f32 v39, v48, v52
	v_dual_sub_f32 v62, v29, v23 :: v_dual_sub_f32 v27, v11, v30
	v_dual_add_f32 v31, v47, v11 :: v_dual_sub_f32 v56, v53, v52
	v_dual_sub_f32 v37, v12, v11 :: v_dual_sub_f32 v60, v53, v54
	v_fma_f32 v11, -0.5, v20, v46
	v_fma_f32 v46, -0.5, v24, v46
	v_dual_sub_f32 v25, v15, v8 :: v_dual_add_f32 v58, v49, v13
	v_sub_f32_e32 v8, v8, v51
	v_dual_sub_f32 v35, v30, v19 :: v_dual_sub_f32 v44, v55, v54
	v_dual_sub_f32 v43, v52, v53 :: v_dual_add_f32 v66, v21, v22
	v_sub_f32_e32 v41, v13, v29
	v_dual_add_f32 v45, v52, v55 :: v_dual_sub_f32 v64, v14, v13
	v_dual_add_f32 v59, v14, v23 :: v_dual_add_f32 v22, v39, v53
	v_sub_f32_e32 v61, v13, v14
	v_dual_add_f32 v63, v13, v29 :: v_dual_fmamk_f32 v20, v28, 0x3f737871, v46
	v_fma_f32 v13, -0.5, v40, v48
	v_dual_sub_f32 v26, v50, v51 :: v_dual_sub_f32 v33, v15, v50
	v_sub_f32_e32 v52, v52, v55
	v_dual_add_f32 v15, v18, v15 :: v_dual_fmac_f32 v46, 0xbf737871, v28
	v_add_f32_e32 v21, v31, v12
	v_fma_f32 v12, -0.5, v32, v47
	v_fma_f32 v48, -0.5, v45, v48
	v_dual_add_f32 v31, v34, v35 :: v_dual_add_f32 v34, v43, v44
	v_dual_add_f32 v39, v22, v54 :: v_dual_fmac_f32 v46, 0x3f167918, v27
	v_fmamk_f32 v22, v41, 0xbf737871, v13
	v_fmac_f32_e32 v47, -0.5, v36
	v_add_f32_e32 v67, v25, v26
	v_add_f32_e32 v25, v58, v14
	v_fma_f32 v14, -0.5, v59, v49
	v_fmamk_f32 v18, v27, 0xbf737871, v11
	v_dual_sub_f32 v65, v23, v29 :: v_dual_add_f32 v36, v61, v62
	v_dual_sub_f32 v57, v54, v55 :: v_dual_add_f32 v32, v37, v38
	s_delay_alu instid0(VALU_DEP_3) | instskip(SKIP_3) | instid1(VALU_DEP_3)
	v_dual_fmac_f32 v49, -0.5, v63 :: v_dual_fmac_f32 v18, 0xbf167918, v28
	v_dual_add_f32 v15, v15, v50 :: v_dual_fmac_f32 v20, 0xbf167918, v27
	v_dual_add_f32 v38, v21, v19 :: v_dual_fmamk_f32 v19, v8, 0x3f737871, v12
	v_fmac_f32_e32 v11, 0x3f737871, v27
	v_add_f32_e32 v26, v15, v51
	v_dual_fmac_f32 v12, 0xbf737871, v8 :: v_dual_fmamk_f32 v21, v33, 0xbf737871, v47
	v_fmac_f32_e32 v47, 0x3f737871, v33
	v_dual_add_f32 v37, v64, v65 :: v_dual_add_f32 v40, v25, v23
	v_fmamk_f32 v23, v52, 0x3f737871, v14
	v_dual_add_f32 v35, v56, v57 :: v_dual_fmamk_f32 v24, v42, 0x3f737871, v48
	v_fmac_f32_e32 v13, 0x3f737871, v41
	v_fmac_f32_e32 v48, 0xbf737871, v42
	v_dual_fmac_f32 v14, 0xbf737871, v52 :: v_dual_fmamk_f32 v25, v60, 0xbf737871, v49
	v_fmac_f32_e32 v49, 0x3f737871, v60
	v_fmac_f32_e32 v19, 0x3f167918, v33
	s_delay_alu instid0(VALU_DEP_4)
	v_dual_fmac_f32 v11, 0x3f167918, v28 :: v_dual_fmac_f32 v48, 0x3f167918, v41
	v_dual_add_f32 v27, v38, v30 :: v_dual_fmac_f32 v12, 0xbf167918, v33
	v_dual_fmac_f32 v47, 0xbf167918, v8 :: v_dual_fmac_f32 v22, 0xbf167918, v42
	v_dual_add_f32 v28, v39, v55 :: v_dual_fmac_f32 v21, 0x3f167918, v8
	v_fmac_f32_e32 v23, 0x3f167918, v60
	v_fmac_f32_e32 v13, 0x3f167918, v42
	v_dual_fmac_f32 v24, 0xbf167918, v41 :: v_dual_fmac_f32 v49, 0xbf167918, v52
	v_dual_add_f32 v29, v40, v29 :: v_dual_fmac_f32 v14, 0xbf167918, v60
	v_fmac_f32_e32 v25, 0x3f167918, v52
	v_dual_fmac_f32 v18, 0x3e9e377a, v66 :: v_dual_fmac_f32 v19, 0x3e9e377a, v31
	v_dual_fmac_f32 v11, 0x3e9e377a, v66 :: v_dual_fmac_f32 v20, 0x3e9e377a, v67
	v_dual_fmac_f32 v46, 0x3e9e377a, v67 :: v_dual_fmac_f32 v21, 0x3e9e377a, v32
	v_dual_fmac_f32 v12, 0x3e9e377a, v31 :: v_dual_fmac_f32 v47, 0x3e9e377a, v32
	v_dual_fmac_f32 v22, 0x3e9e377a, v34 :: v_dual_fmac_f32 v23, 0x3e9e377a, v36
	v_dual_fmac_f32 v13, 0x3e9e377a, v34 :: v_dual_fmac_f32 v24, 0x3e9e377a, v35
	v_dual_fmac_f32 v48, 0x3e9e377a, v35 :: v_dual_fmac_f32 v25, 0x3e9e377a, v37
	v_dual_fmac_f32 v14, 0x3e9e377a, v36 :: v_dual_fmac_f32 v49, 0x3e9e377a, v37
	ds_store_2addr_b64 v10, v[26:27], v[18:19] offset1:50
	ds_store_2addr_b64 v10, v[20:21], v[46:47] offset0:100 offset1:150
	ds_store_b64 v10, v[11:12] offset:1600
	ds_store_2addr_b64 v17, v[28:29], v[22:23] offset1:50
	ds_store_2addr_b64 v17, v[24:25], v[48:49] offset0:100 offset1:150
	ds_store_b64 v17, v[13:14] offset:1600
	global_wb scope:SCOPE_SE
	s_wait_dscnt 0x0
	s_barrier_signal -1
	s_barrier_wait -1
	global_inv scope:SCOPE_SE
	ds_load_b64 v[14:15], v16
	v_sub_nc_u32_e32 v18, v0, v4
                                        ; implicit-def: $vgpr10
                                        ; implicit-def: $vgpr19
                                        ; implicit-def: $vgpr20
                                        ; implicit-def: $vgpr12_vgpr13
	v_cmpx_ne_u32_e32 0, v3
	s_wait_alu 0xfffe
	s_xor_b32 s1, exec_lo, s1
	s_cbranch_execz .LBB0_14
; %bb.13:
	ds_load_b64 v[10:11], v18 offset:2000
	s_wait_dscnt 0x0
	v_dual_mov_b32 v4, v9 :: v_dual_add_f32 v13, v11, v15
	s_delay_alu instid0(VALU_DEP_1) | instskip(SKIP_1) | instid1(VALU_DEP_3)
	v_lshlrev_b64_e32 v[8:9], 3, v[3:4]
	v_dual_sub_f32 v12, v14, v10 :: v_dual_sub_f32 v11, v15, v11
	v_dual_add_f32 v10, v10, v14 :: v_dual_mul_f32 v13, 0.5, v13
	s_delay_alu instid0(VALU_DEP_3) | instskip(SKIP_1) | instid1(VALU_DEP_4)
	v_add_co_u32 v8, s0, s8, v8
	s_wait_alu 0xf1ff
	v_add_co_ci_u32_e64 v9, s0, s9, v9, s0
	v_dual_mul_f32 v12, 0.5, v12 :: v_dual_mul_f32 v11, 0.5, v11
	global_load_b64 v[8:9], v[8:9], off offset:1920
	s_wait_loadcnt 0x0
	v_mul_f32_e32 v14, v9, v12
	v_fma_f32 v15, v13, v9, v11
	v_fma_f32 v9, v13, v9, -v11
	s_delay_alu instid0(VALU_DEP_3) | instskip(NEXT) | instid1(VALU_DEP_3)
	v_fma_f32 v19, 0.5, v10, v14
	v_fma_f32 v20, -v8, v12, v15
	s_delay_alu instid0(VALU_DEP_3) | instskip(NEXT) | instid1(VALU_DEP_3)
	v_fma_f32 v11, -v8, v12, v9
	v_fmac_f32_e32 v19, v8, v13
	v_fma_f32 v10, v10, 0.5, -v14
                                        ; implicit-def: $vgpr14_vgpr15
	s_delay_alu instid0(VALU_DEP_1)
	v_fma_f32 v10, -v8, v13, v10
	v_dual_mov_b32 v13, v4 :: v_dual_mov_b32 v12, v3
.LBB0_14:
	s_wait_alu 0xfffe
	s_and_not1_saveexec_b32 s0, s1
	s_cbranch_execz .LBB0_16
; %bb.15:
	ds_load_b32 v4, v0 offset:1004
	s_wait_dscnt 0x1
	v_dual_add_f32 v19, v14, v15 :: v_dual_mov_b32 v12, 0
	v_dual_sub_f32 v10, v14, v15 :: v_dual_mov_b32 v13, 0
	v_dual_mov_b32 v20, 0 :: v_dual_mov_b32 v11, 0
	s_wait_dscnt 0x0
	v_xor_b32_e32 v4, 0x80000000, v4
	ds_store_b32 v0, v4 offset:1004
.LBB0_16:
	s_wait_alu 0xfffe
	s_or_b32 exec_lo, exec_lo, s0
	v_mov_b32_e32 v8, 0
	v_lshlrev_b64_e32 v[12:13], 3, v[12:13]
	s_wait_dscnt 0x0
	s_delay_alu instid0(VALU_DEP_2) | instskip(NEXT) | instid1(VALU_DEP_1)
	v_lshlrev_b64_e32 v[14:15], 3, v[7:8]
	v_add_co_u32 v14, s0, s8, v14
	s_wait_alu 0xf1ff
	s_delay_alu instid0(VALU_DEP_2)
	v_add_co_ci_u32_e64 v15, s0, s9, v15, s0
	s_add_nc_u64 s[0:1], s[8:9], 0x780
	s_wait_alu 0xfffe
	v_add_co_u32 v12, s0, s0, v12
	global_load_b64 v[14:15], v[14:15], off offset:1920
	s_wait_alu 0xf1ff
	v_add_co_ci_u32_e64 v13, s0, s1, v13, s0
	s_clause 0x2
	global_load_b64 v[21:22], v[12:13], off offset:400
	global_load_b64 v[23:24], v[12:13], off offset:600
	;; [unrolled: 1-line block ×3, first 2 shown]
	ds_store_2addr_b32 v16, v19, v20 offset1:1
	ds_store_b64 v18, v[10:11] offset:2000
	ds_load_b64 v[9:10], v17
	ds_load_b64 v[19:20], v18 offset:1800
	s_wait_dscnt 0x0
	v_dual_add_f32 v7, v10, v20 :: v_dual_sub_f32 v4, v9, v19
	v_dual_sub_f32 v10, v10, v20 :: v_dual_add_f32 v9, v9, v19
	s_delay_alu instid0(VALU_DEP_2) | instskip(SKIP_1) | instid1(VALU_DEP_1)
	v_dual_mul_f32 v7, 0.5, v7 :: v_dual_mul_f32 v4, 0.5, v4
	s_wait_loadcnt 0x3
	v_dual_mul_f32 v10, 0.5, v10 :: v_dual_mul_f32 v11, v15, v4
	s_delay_alu instid0(VALU_DEP_1) | instskip(SKIP_1) | instid1(VALU_DEP_3)
	v_fma_f32 v19, v7, v15, v10
	v_fma_f32 v10, v7, v15, -v10
	v_fma_f32 v15, 0.5, v9, v11
	v_fma_f32 v9, v9, 0.5, -v11
	s_delay_alu instid0(VALU_DEP_4) | instskip(NEXT) | instid1(VALU_DEP_4)
	v_fma_f32 v11, -v14, v4, v19
	v_fma_f32 v10, -v14, v4, v10
	s_delay_alu instid0(VALU_DEP_4) | instskip(NEXT) | instid1(VALU_DEP_4)
	v_fmac_f32_e32 v15, v14, v7
	v_fma_f32 v9, -v14, v7, v9
	ds_store_2addr_b32 v17, v15, v11 offset1:1
	ds_store_b64 v18, v[9:10] offset:1800
	ds_load_b64 v[9:10], v16 offset:400
	ds_load_b64 v[14:15], v18 offset:1600
	s_wait_dscnt 0x0
	v_dual_sub_f32 v4, v9, v14 :: v_dual_add_f32 v7, v10, v15
	v_dual_sub_f32 v10, v10, v15 :: v_dual_add_f32 v9, v9, v14
	s_delay_alu instid0(VALU_DEP_2) | instskip(SKIP_1) | instid1(VALU_DEP_1)
	v_dual_mul_f32 v4, 0.5, v4 :: v_dual_mul_f32 v7, 0.5, v7
	s_wait_loadcnt 0x2
	v_dual_mul_f32 v10, 0.5, v10 :: v_dual_mul_f32 v11, v22, v4
	s_delay_alu instid0(VALU_DEP_1) | instskip(SKIP_1) | instid1(VALU_DEP_3)
	v_fma_f32 v14, v7, v22, v10
	v_fma_f32 v10, v7, v22, -v10
	v_fma_f32 v15, 0.5, v9, v11
	v_fma_f32 v9, v9, 0.5, -v11
	s_delay_alu instid0(VALU_DEP_4) | instskip(NEXT) | instid1(VALU_DEP_4)
	v_fma_f32 v11, -v21, v4, v14
	v_fma_f32 v10, -v21, v4, v10
	s_delay_alu instid0(VALU_DEP_4) | instskip(NEXT) | instid1(VALU_DEP_4)
	v_fmac_f32_e32 v15, v21, v7
	v_fma_f32 v9, -v21, v7, v9
	ds_store_2addr_b32 v16, v15, v11 offset0:100 offset1:101
	ds_store_b64 v18, v[9:10] offset:1600
	ds_load_b64 v[9:10], v16 offset:600
	ds_load_b64 v[14:15], v18 offset:1400
	s_wait_dscnt 0x0
	v_dual_sub_f32 v4, v9, v14 :: v_dual_add_f32 v7, v10, v15
	v_dual_sub_f32 v10, v10, v15 :: v_dual_add_f32 v9, v9, v14
	s_delay_alu instid0(VALU_DEP_2) | instskip(NEXT) | instid1(VALU_DEP_2)
	v_mul_f32_e32 v4, 0.5, v4
	v_dual_mul_f32 v10, 0.5, v10 :: v_dual_mul_f32 v7, 0.5, v7
	s_wait_loadcnt 0x1
	s_delay_alu instid0(VALU_DEP_2) | instskip(NEXT) | instid1(VALU_DEP_2)
	v_mul_f32_e32 v11, v24, v4
	v_fma_f32 v14, v7, v24, v10
	v_fma_f32 v10, v7, v24, -v10
	s_delay_alu instid0(VALU_DEP_3) | instskip(SKIP_1) | instid1(VALU_DEP_4)
	v_fma_f32 v15, 0.5, v9, v11
	v_fma_f32 v9, v9, 0.5, -v11
	v_fma_f32 v11, -v23, v4, v14
	s_delay_alu instid0(VALU_DEP_4) | instskip(NEXT) | instid1(VALU_DEP_4)
	v_fma_f32 v10, -v23, v4, v10
	v_fmac_f32_e32 v15, v23, v7
	s_delay_alu instid0(VALU_DEP_4)
	v_fma_f32 v9, -v23, v7, v9
	ds_store_2addr_b32 v16, v15, v11 offset0:150 offset1:151
	ds_store_b64 v18, v[9:10] offset:1400
	ds_load_b64 v[9:10], v16 offset:800
	ds_load_b64 v[14:15], v18 offset:1200
	s_wait_dscnt 0x0
	v_dual_sub_f32 v4, v9, v14 :: v_dual_add_f32 v7, v10, v15
	v_dual_sub_f32 v10, v10, v15 :: v_dual_add_f32 v9, v9, v14
	s_delay_alu instid0(VALU_DEP_2) | instskip(NEXT) | instid1(VALU_DEP_2)
	v_mul_f32_e32 v4, 0.5, v4
	v_dual_mul_f32 v10, 0.5, v10 :: v_dual_mul_f32 v7, 0.5, v7
	s_wait_loadcnt 0x0
	s_delay_alu instid0(VALU_DEP_2) | instskip(NEXT) | instid1(VALU_DEP_2)
	v_mul_f32_e32 v11, v13, v4
	v_fma_f32 v14, v7, v13, v10
	v_fma_f32 v10, v7, v13, -v10
	s_delay_alu instid0(VALU_DEP_3) | instskip(SKIP_1) | instid1(VALU_DEP_4)
	v_fma_f32 v13, 0.5, v9, v11
	v_fma_f32 v9, v9, 0.5, -v11
	v_fma_f32 v11, -v12, v4, v14
	s_delay_alu instid0(VALU_DEP_4) | instskip(NEXT) | instid1(VALU_DEP_4)
	v_fma_f32 v10, -v12, v4, v10
	v_fmac_f32_e32 v13, v12, v7
	s_delay_alu instid0(VALU_DEP_4)
	v_fma_f32 v9, -v12, v7, v9
	ds_store_2addr_b32 v16, v13, v11 offset0:200 offset1:201
	ds_store_b64 v18, v[9:10] offset:1200
	global_wb scope:SCOPE_SE
	s_wait_dscnt 0x0
	s_barrier_signal -1
	s_barrier_wait -1
	global_inv scope:SCOPE_SE
	s_and_saveexec_b32 s0, vcc_lo
	s_cbranch_execz .LBB0_19
; %bb.17:
	v_mul_lo_u32 v4, s3, v5
	v_mul_lo_u32 v6, s2, v6
	v_mad_co_u64_u32 v[13:14], null, s2, v5, 0
	v_lshl_add_u32 v5, v3, 3, v0
	v_lshlrev_b64_e32 v[0:1], 3, v[1:2]
	v_add_nc_u32_e32 v7, 25, v3
	ds_load_2addr_b64 v[9:12], v5 offset1:25
	v_add3_u32 v14, v14, v6, v4
	v_mov_b32_e32 v4, v8
	v_lshlrev_b64_e32 v[21:22], 3, v[7:8]
	v_add_nc_u32_e32 v7, 50, v3
	s_delay_alu instid0(VALU_DEP_4) | instskip(NEXT) | instid1(VALU_DEP_4)
	v_lshlrev_b64_e32 v[17:18], 3, v[13:14]
	v_lshlrev_b64_e32 v[19:20], 3, v[3:4]
	ds_load_2addr_b64 v[13:16], v5 offset0:50 offset1:75
	v_add_co_u32 v2, vcc_lo, s6, v17
	s_wait_alu 0xfffd
	v_add_co_ci_u32_e32 v4, vcc_lo, s7, v18, vcc_lo
	v_lshlrev_b64_e32 v[17:18], 3, v[7:8]
	s_delay_alu instid0(VALU_DEP_3) | instskip(SKIP_1) | instid1(VALU_DEP_3)
	v_add_co_u32 v0, vcc_lo, v2, v0
	s_wait_alu 0xfffd
	v_add_co_ci_u32_e32 v1, vcc_lo, v4, v1, vcc_lo
	v_add_nc_u32_e32 v7, 0x4b, v3
	s_delay_alu instid0(VALU_DEP_3) | instskip(SKIP_1) | instid1(VALU_DEP_3)
	v_add_co_u32 v19, vcc_lo, v0, v19
	s_wait_alu 0xfffd
	v_add_co_ci_u32_e32 v20, vcc_lo, v1, v20, vcc_lo
	v_add_co_u32 v21, vcc_lo, v0, v21
	v_lshlrev_b64_e32 v[23:24], 3, v[7:8]
	v_add_nc_u32_e32 v7, 0x64, v3
	s_wait_alu 0xfffd
	v_add_co_ci_u32_e32 v22, vcc_lo, v1, v22, vcc_lo
	v_add_co_u32 v17, vcc_lo, v0, v17
	s_wait_alu 0xfffd
	v_add_co_ci_u32_e32 v18, vcc_lo, v1, v18, vcc_lo
	v_lshlrev_b64_e32 v[25:26], 3, v[7:8]
	v_add_nc_u32_e32 v7, 0x7d, v3
	v_add_co_u32 v23, vcc_lo, v0, v23
	s_wait_alu 0xfffd
	v_add_co_ci_u32_e32 v24, vcc_lo, v1, v24, vcc_lo
	s_wait_dscnt 0x1
	s_clause 0x1
	global_store_b64 v[19:20], v[9:10], off
	global_store_b64 v[21:22], v[11:12], off
	s_wait_dscnt 0x0
	s_clause 0x1
	global_store_b64 v[17:18], v[13:14], off
	global_store_b64 v[23:24], v[15:16], off
	v_lshlrev_b64_e32 v[13:14], 3, v[7:8]
	v_add_nc_u32_e32 v7, 0x96, v3
	v_add_co_u32 v21, vcc_lo, v0, v25
	s_wait_alu 0xfffd
	v_add_co_ci_u32_e32 v22, vcc_lo, v1, v26, vcc_lo
	s_delay_alu instid0(VALU_DEP_3)
	v_lshlrev_b64_e32 v[17:18], 3, v[7:8]
	v_add_nc_u32_e32 v7, 0xaf, v3
	v_add_co_u32 v23, vcc_lo, v0, v13
	ds_load_2addr_b64 v[9:12], v5 offset0:100 offset1:125
	s_wait_alu 0xfffd
	v_add_co_ci_u32_e32 v24, vcc_lo, v1, v14, vcc_lo
	v_lshlrev_b64_e32 v[25:26], 3, v[7:8]
	v_add_nc_u32_e32 v7, 0xc8, v3
	ds_load_2addr_b64 v[13:16], v5 offset0:150 offset1:175
	v_add_co_u32 v27, vcc_lo, v0, v17
	s_wait_alu 0xfffd
	v_add_co_ci_u32_e32 v28, vcc_lo, v1, v18, vcc_lo
	v_lshlrev_b64_e32 v[29:30], 3, v[7:8]
	v_add_nc_u32_e32 v7, 0xe1, v3
	ds_load_2addr_b64 v[17:20], v5 offset0:200 offset1:225
	v_add_co_u32 v25, vcc_lo, v0, v25
	s_wait_alu 0xfffd
	v_add_co_ci_u32_e32 v26, vcc_lo, v1, v26, vcc_lo
	v_lshlrev_b64_e32 v[6:7], 3, v[7:8]
	v_add_co_u32 v29, vcc_lo, v0, v29
	s_wait_alu 0xfffd
	v_add_co_ci_u32_e32 v30, vcc_lo, v1, v30, vcc_lo
	s_delay_alu instid0(VALU_DEP_3)
	v_add_co_u32 v6, vcc_lo, v0, v6
	s_wait_alu 0xfffd
	v_add_co_ci_u32_e32 v7, vcc_lo, v1, v7, vcc_lo
	v_cmp_eq_u32_e32 vcc_lo, 24, v3
	s_wait_dscnt 0x2
	s_clause 0x1
	global_store_b64 v[21:22], v[9:10], off
	global_store_b64 v[23:24], v[11:12], off
	s_wait_dscnt 0x1
	s_clause 0x1
	global_store_b64 v[27:28], v[13:14], off
	global_store_b64 v[25:26], v[15:16], off
	;; [unrolled: 4-line block ×3, first 2 shown]
	s_and_b32 exec_lo, exec_lo, vcc_lo
	s_cbranch_execz .LBB0_19
; %bb.18:
	ds_load_b64 v[2:3], v5 offset:1808
	s_wait_dscnt 0x0
	global_store_b64 v[0:1], v[2:3], off offset:2000
.LBB0_19:
	s_nop 0
	s_sendmsg sendmsg(MSG_DEALLOC_VGPRS)
	s_endpgm
	.section	.rodata,"a",@progbits
	.p2align	6, 0x0
	.amdhsa_kernel fft_rtc_back_len250_factors_10_5_5_wgs_125_tpt_25_halfLds_sp_op_CI_CI_unitstride_sbrr_R2C_dirReg
		.amdhsa_group_segment_fixed_size 0
		.amdhsa_private_segment_fixed_size 0
		.amdhsa_kernarg_size 104
		.amdhsa_user_sgpr_count 2
		.amdhsa_user_sgpr_dispatch_ptr 0
		.amdhsa_user_sgpr_queue_ptr 0
		.amdhsa_user_sgpr_kernarg_segment_ptr 1
		.amdhsa_user_sgpr_dispatch_id 0
		.amdhsa_user_sgpr_private_segment_size 0
		.amdhsa_wavefront_size32 1
		.amdhsa_uses_dynamic_stack 0
		.amdhsa_enable_private_segment 0
		.amdhsa_system_sgpr_workgroup_id_x 1
		.amdhsa_system_sgpr_workgroup_id_y 0
		.amdhsa_system_sgpr_workgroup_id_z 0
		.amdhsa_system_sgpr_workgroup_info 0
		.amdhsa_system_vgpr_workitem_id 0
		.amdhsa_next_free_vgpr 74
		.amdhsa_next_free_sgpr 39
		.amdhsa_reserve_vcc 1
		.amdhsa_float_round_mode_32 0
		.amdhsa_float_round_mode_16_64 0
		.amdhsa_float_denorm_mode_32 3
		.amdhsa_float_denorm_mode_16_64 3
		.amdhsa_fp16_overflow 0
		.amdhsa_workgroup_processor_mode 1
		.amdhsa_memory_ordered 1
		.amdhsa_forward_progress 0
		.amdhsa_round_robin_scheduling 0
		.amdhsa_exception_fp_ieee_invalid_op 0
		.amdhsa_exception_fp_denorm_src 0
		.amdhsa_exception_fp_ieee_div_zero 0
		.amdhsa_exception_fp_ieee_overflow 0
		.amdhsa_exception_fp_ieee_underflow 0
		.amdhsa_exception_fp_ieee_inexact 0
		.amdhsa_exception_int_div_zero 0
	.end_amdhsa_kernel
	.text
.Lfunc_end0:
	.size	fft_rtc_back_len250_factors_10_5_5_wgs_125_tpt_25_halfLds_sp_op_CI_CI_unitstride_sbrr_R2C_dirReg, .Lfunc_end0-fft_rtc_back_len250_factors_10_5_5_wgs_125_tpt_25_halfLds_sp_op_CI_CI_unitstride_sbrr_R2C_dirReg
                                        ; -- End function
	.section	.AMDGPU.csdata,"",@progbits
; Kernel info:
; codeLenInByte = 6912
; NumSgprs: 41
; NumVgprs: 74
; ScratchSize: 0
; MemoryBound: 0
; FloatMode: 240
; IeeeMode: 1
; LDSByteSize: 0 bytes/workgroup (compile time only)
; SGPRBlocks: 5
; VGPRBlocks: 9
; NumSGPRsForWavesPerEU: 41
; NumVGPRsForWavesPerEU: 74
; Occupancy: 16
; WaveLimiterHint : 1
; COMPUTE_PGM_RSRC2:SCRATCH_EN: 0
; COMPUTE_PGM_RSRC2:USER_SGPR: 2
; COMPUTE_PGM_RSRC2:TRAP_HANDLER: 0
; COMPUTE_PGM_RSRC2:TGID_X_EN: 1
; COMPUTE_PGM_RSRC2:TGID_Y_EN: 0
; COMPUTE_PGM_RSRC2:TGID_Z_EN: 0
; COMPUTE_PGM_RSRC2:TIDIG_COMP_CNT: 0
	.text
	.p2alignl 7, 3214868480
	.fill 96, 4, 3214868480
	.type	__hip_cuid_dbcef8ed9b277b57,@object ; @__hip_cuid_dbcef8ed9b277b57
	.section	.bss,"aw",@nobits
	.globl	__hip_cuid_dbcef8ed9b277b57
__hip_cuid_dbcef8ed9b277b57:
	.byte	0                               ; 0x0
	.size	__hip_cuid_dbcef8ed9b277b57, 1

	.ident	"AMD clang version 19.0.0git (https://github.com/RadeonOpenCompute/llvm-project roc-6.4.0 25133 c7fe45cf4b819c5991fe208aaa96edf142730f1d)"
	.section	".note.GNU-stack","",@progbits
	.addrsig
	.addrsig_sym __hip_cuid_dbcef8ed9b277b57
	.amdgpu_metadata
---
amdhsa.kernels:
  - .args:
      - .actual_access:  read_only
        .address_space:  global
        .offset:         0
        .size:           8
        .value_kind:     global_buffer
      - .offset:         8
        .size:           8
        .value_kind:     by_value
      - .actual_access:  read_only
        .address_space:  global
        .offset:         16
        .size:           8
        .value_kind:     global_buffer
      - .actual_access:  read_only
        .address_space:  global
        .offset:         24
        .size:           8
        .value_kind:     global_buffer
      - .actual_access:  read_only
        .address_space:  global
        .offset:         32
        .size:           8
        .value_kind:     global_buffer
      - .offset:         40
        .size:           8
        .value_kind:     by_value
      - .actual_access:  read_only
        .address_space:  global
        .offset:         48
        .size:           8
        .value_kind:     global_buffer
      - .actual_access:  read_only
        .address_space:  global
        .offset:         56
        .size:           8
        .value_kind:     global_buffer
      - .offset:         64
        .size:           4
        .value_kind:     by_value
      - .actual_access:  read_only
        .address_space:  global
        .offset:         72
        .size:           8
        .value_kind:     global_buffer
      - .actual_access:  read_only
        .address_space:  global
        .offset:         80
        .size:           8
        .value_kind:     global_buffer
      - .actual_access:  read_only
        .address_space:  global
        .offset:         88
        .size:           8
        .value_kind:     global_buffer
      - .actual_access:  write_only
        .address_space:  global
        .offset:         96
        .size:           8
        .value_kind:     global_buffer
    .group_segment_fixed_size: 0
    .kernarg_segment_align: 8
    .kernarg_segment_size: 104
    .language:       OpenCL C
    .language_version:
      - 2
      - 0
    .max_flat_workgroup_size: 125
    .name:           fft_rtc_back_len250_factors_10_5_5_wgs_125_tpt_25_halfLds_sp_op_CI_CI_unitstride_sbrr_R2C_dirReg
    .private_segment_fixed_size: 0
    .sgpr_count:     41
    .sgpr_spill_count: 0
    .symbol:         fft_rtc_back_len250_factors_10_5_5_wgs_125_tpt_25_halfLds_sp_op_CI_CI_unitstride_sbrr_R2C_dirReg.kd
    .uniform_work_group_size: 1
    .uses_dynamic_stack: false
    .vgpr_count:     74
    .vgpr_spill_count: 0
    .wavefront_size: 32
    .workgroup_processor_mode: 1
amdhsa.target:   amdgcn-amd-amdhsa--gfx1201
amdhsa.version:
  - 1
  - 2
...

	.end_amdgpu_metadata
